;; amdgpu-corpus repo=zjin-lcf/HeCBench kind=compiled arch=gfx1250 opt=O3
	.amdgcn_target "amdgcn-amd-amdhsa--gfx1250"
	.amdhsa_code_object_version 6
	.text
	.protected	_Z6filterPiS_PKii       ; -- Begin function _Z6filterPiS_PKii
	.globl	_Z6filterPiS_PKii
	.p2align	8
	.type	_Z6filterPiS_PKii,@function
_Z6filterPiS_PKii:                      ; @_Z6filterPiS_PKii
; %bb.0:
	s_load_b32 s3, s[0:1], 0x2c
	v_cmp_eq_u32_e64 s2, 0, v0
	s_and_saveexec_b32 s4, s2
; %bb.1:
	v_mov_b32_e32 v1, 0
	ds_store_b32 v1, v1
; %bb.2:
	s_or_b32 exec_lo, exec_lo, s4
	s_bfe_u32 s5, ttmp6, 0x4000c
	s_load_b32 s4, s[0:1], 0x18
	s_add_co_i32 s5, s5, 1
	s_and_b32 s6, ttmp6, 15
	s_mul_i32 s5, ttmp9, s5
	s_getreg_b32 s7, hwreg(HW_REG_IB_STS2, 6, 4)
	s_wait_kmcnt 0x0
	s_and_b32 s3, 0xffff, s3
	s_add_co_i32 s6, s6, s5
	s_cmp_eq_u32 s7, 0
	s_wait_dscnt 0x0
	s_cselect_b32 s5, ttmp9, s6
	s_barrier_signal -1
	v_mad_u32 v2, s5, s3, v0
	s_barrier_wait -1
                                        ; implicit-def: $vgpr0
                                        ; implicit-def: $vgpr1
	s_delay_alu instid0(VALU_DEP_1)
	v_cmp_gt_i32_e32 vcc_lo, s4, v2
	s_and_saveexec_b32 s4, vcc_lo
	s_cbranch_execz .LBB0_8
; %bb.3:
	s_load_b64 s[6:7], s[0:1], 0x10
	s_mov_b32 s5, exec_lo
                                        ; implicit-def: $vgpr1
	s_wait_kmcnt 0x0
	global_load_b32 v0, v2, s[6:7] scale_offset
	s_wait_loadcnt 0x0
	v_cmpx_lt_i32_e32 0, v0
	s_cbranch_execz .LBB0_7
; %bb.4:
	s_mov_b32 s7, exec_lo
	s_mov_b32 s6, exec_lo
	v_mbcnt_lo_u32_b32 v1, s7, 0
                                        ; implicit-def: $vgpr2
	s_delay_alu instid0(VALU_DEP_1)
	v_cmpx_eq_u32_e32 0, v1
; %bb.5:
	s_bcnt1_i32_b32 s3, s7
	s_delay_alu instid0(SALU_CYCLE_1)
	v_dual_mov_b32 v2, 0 :: v_dual_mov_b32 v3, s3
	ds_add_rtn_u32 v2, v2, v3
; %bb.6:
	s_or_b32 exec_lo, exec_lo, s6
	s_wait_dscnt 0x0
	v_readfirstlane_b32 s3, v2
	s_delay_alu instid0(VALU_DEP_1)
	v_add_nc_u32_e32 v1, s3, v1
.LBB0_7:
	s_or_b32 exec_lo, exec_lo, s5
.LBB0_8:
	s_delay_alu instid0(SALU_CYCLE_1)
	s_or_b32 exec_lo, exec_lo, s4
	s_load_b64 s[4:5], s[0:1], 0x0
	s_barrier_signal -1
	s_barrier_wait -1
	s_and_saveexec_b32 s3, s2
	s_cbranch_execz .LBB0_12
; %bb.9:
	v_mov_b32_e32 v2, 0
	s_mov_b32 s6, exec_lo
	s_mov_b32 s7, exec_lo
	v_mbcnt_lo_u32_b32 v4, s6, 0
                                        ; implicit-def: $vgpr5
	ds_load_b32 v3, v2
	v_cmpx_eq_u32_e32 0, v4
	s_cbranch_execz .LBB0_11
; %bb.10:
	s_wait_xcnt 0x0
	s_load_b64 s[0:1], s[0:1], 0x8
	s_bcnt1_i32_b32 s2, s6
	s_wait_dscnt 0x0
	v_mul_lo_u32 v5, v3, s2
	s_wait_xcnt 0x0
	s_wait_kmcnt 0x0
	global_atomic_add_u32 v5, v2, v5, s[0:1] th:TH_ATOMIC_RETURN scope:SCOPE_DEV
.LBB0_11:
	s_wait_xcnt 0x0
	s_or_b32 exec_lo, exec_lo, s7
	s_wait_loadcnt 0x0
	v_readfirstlane_b32 s0, v5
	s_wait_dscnt 0x0
	s_delay_alu instid0(VALU_DEP_1)
	v_mad_u32 v3, v3, v4, s0
	ds_store_b32 v2, v3
.LBB0_12:
	s_or_b32 exec_lo, exec_lo, s3
	s_wait_xcnt 0x0
	v_cmp_lt_i32_e64 s0, 0, v0
	s_wait_dscnt 0x0
	s_barrier_signal -1
	s_barrier_wait -1
	s_and_b32 s1, vcc_lo, s0
	s_delay_alu instid0(SALU_CYCLE_1)
	s_and_saveexec_b32 s0, s1
	s_cbranch_execz .LBB0_14
; %bb.13:
	v_mov_b32_e32 v2, 0
	ds_load_b32 v2, v2
	s_wait_dscnt 0x0
	v_add_nc_u32_e32 v1, v2, v1
	s_wait_kmcnt 0x0
	global_store_b32 v1, v0, s[4:5] scale_offset
.LBB0_14:
	s_wait_xcnt 0x0
	s_or_b32 exec_lo, exec_lo, s0
	s_wait_storecnt 0x0
	s_barrier_signal -1
	s_barrier_wait -1
	s_endpgm
	.section	.rodata,"a",@progbits
	.p2align	6, 0x0
	.amdhsa_kernel _Z6filterPiS_PKii
		.amdhsa_group_segment_fixed_size 4
		.amdhsa_private_segment_fixed_size 0
		.amdhsa_kernarg_size 288
		.amdhsa_user_sgpr_count 2
		.amdhsa_user_sgpr_dispatch_ptr 0
		.amdhsa_user_sgpr_queue_ptr 0
		.amdhsa_user_sgpr_kernarg_segment_ptr 1
		.amdhsa_user_sgpr_dispatch_id 0
		.amdhsa_user_sgpr_kernarg_preload_length 0
		.amdhsa_user_sgpr_kernarg_preload_offset 0
		.amdhsa_user_sgpr_private_segment_size 0
		.amdhsa_wavefront_size32 1
		.amdhsa_uses_dynamic_stack 0
		.amdhsa_enable_private_segment 0
		.amdhsa_system_sgpr_workgroup_id_x 1
		.amdhsa_system_sgpr_workgroup_id_y 0
		.amdhsa_system_sgpr_workgroup_id_z 0
		.amdhsa_system_sgpr_workgroup_info 0
		.amdhsa_system_vgpr_workitem_id 0
		.amdhsa_next_free_vgpr 6
		.amdhsa_next_free_sgpr 8
		.amdhsa_named_barrier_count 0
		.amdhsa_reserve_vcc 1
		.amdhsa_float_round_mode_32 0
		.amdhsa_float_round_mode_16_64 0
		.amdhsa_float_denorm_mode_32 3
		.amdhsa_float_denorm_mode_16_64 3
		.amdhsa_fp16_overflow 0
		.amdhsa_memory_ordered 1
		.amdhsa_forward_progress 1
		.amdhsa_inst_pref_size 4
		.amdhsa_round_robin_scheduling 0
		.amdhsa_exception_fp_ieee_invalid_op 0
		.amdhsa_exception_fp_denorm_src 0
		.amdhsa_exception_fp_ieee_div_zero 0
		.amdhsa_exception_fp_ieee_overflow 0
		.amdhsa_exception_fp_ieee_underflow 0
		.amdhsa_exception_fp_ieee_inexact 0
		.amdhsa_exception_int_div_zero 0
	.end_amdhsa_kernel
	.text
.Lfunc_end0:
	.size	_Z6filterPiS_PKii, .Lfunc_end0-_Z6filterPiS_PKii
                                        ; -- End function
	.set _Z6filterPiS_PKii.num_vgpr, 6
	.set _Z6filterPiS_PKii.num_agpr, 0
	.set _Z6filterPiS_PKii.numbered_sgpr, 8
	.set _Z6filterPiS_PKii.num_named_barrier, 0
	.set _Z6filterPiS_PKii.private_seg_size, 0
	.set _Z6filterPiS_PKii.uses_vcc, 1
	.set _Z6filterPiS_PKii.uses_flat_scratch, 0
	.set _Z6filterPiS_PKii.has_dyn_sized_stack, 0
	.set _Z6filterPiS_PKii.has_recursion, 0
	.set _Z6filterPiS_PKii.has_indirect_call, 0
	.section	.AMDGPU.csdata,"",@progbits
; Kernel info:
; codeLenInByte = 500
; TotalNumSgprs: 10
; NumVgprs: 6
; ScratchSize: 0
; MemoryBound: 0
; FloatMode: 240
; IeeeMode: 1
; LDSByteSize: 4 bytes/workgroup (compile time only)
; SGPRBlocks: 0
; VGPRBlocks: 0
; NumSGPRsForWavesPerEU: 10
; NumVGPRsForWavesPerEU: 6
; NamedBarCnt: 0
; Occupancy: 16
; WaveLimiterHint : 0
; COMPUTE_PGM_RSRC2:SCRATCH_EN: 0
; COMPUTE_PGM_RSRC2:USER_SGPR: 2
; COMPUTE_PGM_RSRC2:TRAP_HANDLER: 0
; COMPUTE_PGM_RSRC2:TGID_X_EN: 1
; COMPUTE_PGM_RSRC2:TGID_Y_EN: 0
; COMPUTE_PGM_RSRC2:TGID_Z_EN: 0
; COMPUTE_PGM_RSRC2:TIDIG_COMP_CNT: 0
	.text
	.protected	_Z7filter2PiS_PKii      ; -- Begin function _Z7filter2PiS_PKii
	.globl	_Z7filter2PiS_PKii
	.p2align	8
	.type	_Z7filter2PiS_PKii,@function
_Z7filter2PiS_PKii:                     ; @_Z7filter2PiS_PKii
; %bb.0:
	s_clause 0x1
	s_load_b32 s2, s[0:1], 0x2c
	s_load_b32 s3, s[0:1], 0x18
	s_bfe_u32 s4, ttmp6, 0x4000c
	s_and_b32 s5, ttmp6, 15
	s_add_co_i32 s4, s4, 1
	s_getreg_b32 s6, hwreg(HW_REG_IB_STS2, 6, 4)
	s_mul_i32 s4, ttmp9, s4
	s_delay_alu instid0(SALU_CYCLE_1) | instskip(SKIP_4) | instid1(SALU_CYCLE_1)
	s_add_co_i32 s5, s5, s4
	s_wait_kmcnt 0x0
	s_and_b32 s2, s2, 0xffff
	s_cmp_eq_u32 s6, 0
	s_cselect_b32 s4, ttmp9, s5
	v_mad_u32 v0, s4, s2, v0
	s_mov_b32 s2, exec_lo
	s_delay_alu instid0(VALU_DEP_1)
	v_cmpx_gt_i32_e64 s3, v0
	s_cbranch_execz .LBB1_15
; %bb.1:
	s_load_b64 s[2:3], s[0:1], 0x10
	s_wait_kmcnt 0x0
	global_load_b32 v0, v0, s[2:3] scale_offset
	s_wait_loadcnt 0x0
	v_cmp_lt_i32_e32 vcc_lo, 0, v0
	s_and_b32 exec_lo, exec_lo, vcc_lo
	s_cbranch_execz .LBB1_15
; %bb.2:
	s_load_b64 s[2:3], s[0:1], 0x0
	s_mov_b32 s4, exec_lo
	v_mov_b32_e32 v2, 0
	v_mbcnt_lo_u32_b32 v1, s4, 0
	s_mov_b32 s5, exec_lo
	s_delay_alu instid0(VALU_DEP_1)
	v_cmpx_eq_u32_e32 0, v1
	s_cbranch_execz .LBB1_6
; %bb.3:
	s_mov_b32 s8, exec_lo
	s_bcnt1_i32_b32 s6, s4
	v_mbcnt_lo_u32_b32 v2, s8, 0
	s_mov_b32 s7, exec_lo
                                        ; implicit-def: $vgpr3
	s_delay_alu instid0(VALU_DEP_1)
	v_cmpx_eq_u32_e32 0, v2
	s_cbranch_execz .LBB1_5
; %bb.4:
	s_wait_xcnt 0x0
	s_load_b64 s[0:1], s[0:1], 0x8
	s_bcnt1_i32_b32 s8, s8
	s_delay_alu instid0(SALU_CYCLE_1) | instskip(NEXT) | instid1(SALU_CYCLE_1)
	s_mul_i32 s8, s6, s8
	v_dual_mov_b32 v3, 0 :: v_dual_mov_b32 v4, s8
	s_wait_xcnt 0x0
	s_wait_kmcnt 0x0
	global_atomic_add_u32 v3, v3, v4, s[0:1] th:TH_ATOMIC_RETURN scope:SCOPE_DEV
.LBB1_5:
	s_wait_xcnt 0x0
	s_or_b32 exec_lo, exec_lo, s7
	s_wait_loadcnt 0x0
	v_readfirstlane_b32 s0, v3
	s_delay_alu instid0(VALU_DEP_1)
	v_mad_u32_u24 v2, s6, v2, s0
.LBB1_6:
	s_or_b32 exec_lo, exec_lo, s5
	s_cmp_lt_i32 s4, 0
	s_cbranch_scc1 .LBB1_10
; %bb.7:
	s_cmp_eq_u32 s4, 0
	s_wait_xcnt 0x0
	s_mov_b32 s0, -1
	s_cbranch_scc0 .LBB1_9
; %bb.8:
	s_mov_b32 s0, 0
.LBB1_9:
	s_mov_b32 s1, 0x4000001f
	s_branch .LBB1_12
.LBB1_10:
	s_wait_xcnt 0x0
	s_mov_b32 s0, 0
	s_mov_b32 s1, 0x4000001f
	s_cbranch_execz .LBB1_12
; %bb.11:
	s_cmp_lg_u32 s4, -1
	s_mov_b32 s1, 0
	s_cselect_b32 s0, -1, 0
.LBB1_12:
	s_delay_alu instid0(SALU_CYCLE_1)
	s_and_not1_b32 vcc_lo, exec_lo, s0
	s_cbranch_vccnz .LBB1_14
; %bb.13:
	s_and_b32 s0, s4, 0xffff
	s_lshr_b32 s1, s4, 16
	s_cmp_eq_u32 s0, 0
	s_cselect_b32 s0, s1, s0
	s_cselect_b32 s1, 16, 0
	s_and_b32 s4, s0, 0xff
	s_lshr_b32 s0, s0, 8
	s_cmp_eq_u32 s4, 0
	s_cselect_b32 s0, s0, s4
	s_cselect_b32 s5, 8, 0
	s_and_b32 s4, s0, 15
	s_or_b32 s1, s5, s1
	s_lshr_b32 s0, s0, 4
	s_cmp_eq_u32 s4, 0
	s_cselect_b32 s0, s0, s4
	s_cselect_b32 s5, 4, 0
	s_and_b32 s4, s0, 3
	s_or_b32 s1, s1, s5
	s_lshr_b32 s5, s0, 2
	s_cmp_eq_u32 s4, 0
	s_cselect_b32 s4, 2, 0
	s_cselect_b32 s0, s5, s0
	s_or_b32 s1, s1, s4
	s_and_b32 s0, s0, 1
	s_delay_alu instid0(SALU_CYCLE_1) | instskip(NEXT) | instid1(SALU_CYCLE_1)
	s_or_b32 s0, s1, s0
	s_xor_b32 s1, s0, 1
.LBB1_14:
	s_delay_alu instid0(SALU_CYCLE_1) | instskip(NEXT) | instid1(SALU_CYCLE_1)
	s_lshl_b32 s0, s1, 2
	v_mov_b32_e32 v3, s0
	ds_bpermute_b32 v2, v3, v2
	s_wait_dscnt 0x0
	v_add_nc_u32_e32 v1, v2, v1
	s_wait_kmcnt 0x0
	global_store_b32 v1, v0, s[2:3] scale_offset
.LBB1_15:
	s_endpgm
	.section	.rodata,"a",@progbits
	.p2align	6, 0x0
	.amdhsa_kernel _Z7filter2PiS_PKii
		.amdhsa_group_segment_fixed_size 0
		.amdhsa_private_segment_fixed_size 0
		.amdhsa_kernarg_size 288
		.amdhsa_user_sgpr_count 2
		.amdhsa_user_sgpr_dispatch_ptr 0
		.amdhsa_user_sgpr_queue_ptr 0
		.amdhsa_user_sgpr_kernarg_segment_ptr 1
		.amdhsa_user_sgpr_dispatch_id 0
		.amdhsa_user_sgpr_kernarg_preload_length 0
		.amdhsa_user_sgpr_kernarg_preload_offset 0
		.amdhsa_user_sgpr_private_segment_size 0
		.amdhsa_wavefront_size32 1
		.amdhsa_uses_dynamic_stack 0
		.amdhsa_enable_private_segment 0
		.amdhsa_system_sgpr_workgroup_id_x 1
		.amdhsa_system_sgpr_workgroup_id_y 0
		.amdhsa_system_sgpr_workgroup_id_z 0
		.amdhsa_system_sgpr_workgroup_info 0
		.amdhsa_system_vgpr_workitem_id 0
		.amdhsa_next_free_vgpr 5
		.amdhsa_next_free_sgpr 9
		.amdhsa_named_barrier_count 0
		.amdhsa_reserve_vcc 1
		.amdhsa_float_round_mode_32 0
		.amdhsa_float_round_mode_16_64 0
		.amdhsa_float_denorm_mode_32 3
		.amdhsa_float_denorm_mode_16_64 3
		.amdhsa_fp16_overflow 0
		.amdhsa_memory_ordered 1
		.amdhsa_forward_progress 1
		.amdhsa_inst_pref_size 5
		.amdhsa_round_robin_scheduling 0
		.amdhsa_exception_fp_ieee_invalid_op 0
		.amdhsa_exception_fp_denorm_src 0
		.amdhsa_exception_fp_ieee_div_zero 0
		.amdhsa_exception_fp_ieee_overflow 0
		.amdhsa_exception_fp_ieee_underflow 0
		.amdhsa_exception_fp_ieee_inexact 0
		.amdhsa_exception_int_div_zero 0
	.end_amdhsa_kernel
	.text
.Lfunc_end1:
	.size	_Z7filter2PiS_PKii, .Lfunc_end1-_Z7filter2PiS_PKii
                                        ; -- End function
	.set _Z7filter2PiS_PKii.num_vgpr, 5
	.set _Z7filter2PiS_PKii.num_agpr, 0
	.set _Z7filter2PiS_PKii.numbered_sgpr, 9
	.set _Z7filter2PiS_PKii.num_named_barrier, 0
	.set _Z7filter2PiS_PKii.private_seg_size, 0
	.set _Z7filter2PiS_PKii.uses_vcc, 1
	.set _Z7filter2PiS_PKii.uses_flat_scratch, 0
	.set _Z7filter2PiS_PKii.has_dyn_sized_stack, 0
	.set _Z7filter2PiS_PKii.has_recursion, 0
	.set _Z7filter2PiS_PKii.has_indirect_call, 0
	.section	.AMDGPU.csdata,"",@progbits
; Kernel info:
; codeLenInByte = 544
; TotalNumSgprs: 11
; NumVgprs: 5
; ScratchSize: 0
; MemoryBound: 0
; FloatMode: 240
; IeeeMode: 1
; LDSByteSize: 0 bytes/workgroup (compile time only)
; SGPRBlocks: 0
; VGPRBlocks: 0
; NumSGPRsForWavesPerEU: 11
; NumVGPRsForWavesPerEU: 5
; NamedBarCnt: 0
; Occupancy: 16
; WaveLimiterHint : 0
; COMPUTE_PGM_RSRC2:SCRATCH_EN: 0
; COMPUTE_PGM_RSRC2:USER_SGPR: 2
; COMPUTE_PGM_RSRC2:TRAP_HANDLER: 0
; COMPUTE_PGM_RSRC2:TGID_X_EN: 1
; COMPUTE_PGM_RSRC2:TGID_Y_EN: 0
; COMPUTE_PGM_RSRC2:TGID_Z_EN: 0
; COMPUTE_PGM_RSRC2:TIDIG_COMP_CNT: 0
	.text
	.p2alignl 7, 3214868480
	.fill 96, 4, 3214868480
	.section	.AMDGPU.gpr_maximums,"",@progbits
	.set amdgpu.max_num_vgpr, 0
	.set amdgpu.max_num_agpr, 0
	.set amdgpu.max_num_sgpr, 0
	.text
	.type	__hip_cuid_6e51bdcf1d8a9722,@object ; @__hip_cuid_6e51bdcf1d8a9722
	.section	.bss,"aw",@nobits
	.globl	__hip_cuid_6e51bdcf1d8a9722
__hip_cuid_6e51bdcf1d8a9722:
	.byte	0                               ; 0x0
	.size	__hip_cuid_6e51bdcf1d8a9722, 1

	.ident	"AMD clang version 22.0.0git (https://github.com/RadeonOpenCompute/llvm-project roc-7.2.4 26084 f58b06dce1f9c15707c5f808fd002e18c2accf7e)"
	.section	".note.GNU-stack","",@progbits
	.addrsig
	.addrsig_sym __hip_cuid_6e51bdcf1d8a9722
	.amdgpu_metadata
---
amdhsa.kernels:
  - .args:
      - .actual_access:  write_only
        .address_space:  global
        .offset:         0
        .size:           8
        .value_kind:     global_buffer
      - .address_space:  global
        .offset:         8
        .size:           8
        .value_kind:     global_buffer
      - .actual_access:  read_only
        .address_space:  global
        .offset:         16
        .size:           8
        .value_kind:     global_buffer
      - .offset:         24
        .size:           4
        .value_kind:     by_value
      - .offset:         32
        .size:           4
        .value_kind:     hidden_block_count_x
      - .offset:         36
        .size:           4
        .value_kind:     hidden_block_count_y
      - .offset:         40
        .size:           4
        .value_kind:     hidden_block_count_z
      - .offset:         44
        .size:           2
        .value_kind:     hidden_group_size_x
      - .offset:         46
        .size:           2
        .value_kind:     hidden_group_size_y
      - .offset:         48
        .size:           2
        .value_kind:     hidden_group_size_z
      - .offset:         50
        .size:           2
        .value_kind:     hidden_remainder_x
      - .offset:         52
        .size:           2
        .value_kind:     hidden_remainder_y
      - .offset:         54
        .size:           2
        .value_kind:     hidden_remainder_z
      - .offset:         72
        .size:           8
        .value_kind:     hidden_global_offset_x
      - .offset:         80
        .size:           8
        .value_kind:     hidden_global_offset_y
      - .offset:         88
        .size:           8
        .value_kind:     hidden_global_offset_z
      - .offset:         96
        .size:           2
        .value_kind:     hidden_grid_dims
    .group_segment_fixed_size: 4
    .kernarg_segment_align: 8
    .kernarg_segment_size: 288
    .language:       OpenCL C
    .language_version:
      - 2
      - 0
    .max_flat_workgroup_size: 1024
    .name:           _Z6filterPiS_PKii
    .private_segment_fixed_size: 0
    .sgpr_count:     10
    .sgpr_spill_count: 0
    .symbol:         _Z6filterPiS_PKii.kd
    .uniform_work_group_size: 1
    .uses_dynamic_stack: false
    .vgpr_count:     6
    .vgpr_spill_count: 0
    .wavefront_size: 32
  - .args:
      - .actual_access:  write_only
        .address_space:  global
        .offset:         0
        .size:           8
        .value_kind:     global_buffer
      - .address_space:  global
        .offset:         8
        .size:           8
        .value_kind:     global_buffer
      - .actual_access:  read_only
        .address_space:  global
        .offset:         16
        .size:           8
        .value_kind:     global_buffer
      - .offset:         24
        .size:           4
        .value_kind:     by_value
      - .offset:         32
        .size:           4
        .value_kind:     hidden_block_count_x
      - .offset:         36
        .size:           4
        .value_kind:     hidden_block_count_y
      - .offset:         40
        .size:           4
        .value_kind:     hidden_block_count_z
      - .offset:         44
        .size:           2
        .value_kind:     hidden_group_size_x
      - .offset:         46
        .size:           2
        .value_kind:     hidden_group_size_y
      - .offset:         48
        .size:           2
        .value_kind:     hidden_group_size_z
      - .offset:         50
        .size:           2
        .value_kind:     hidden_remainder_x
      - .offset:         52
        .size:           2
        .value_kind:     hidden_remainder_y
      - .offset:         54
        .size:           2
        .value_kind:     hidden_remainder_z
      - .offset:         72
        .size:           8
        .value_kind:     hidden_global_offset_x
      - .offset:         80
        .size:           8
        .value_kind:     hidden_global_offset_y
      - .offset:         88
        .size:           8
        .value_kind:     hidden_global_offset_z
      - .offset:         96
        .size:           2
        .value_kind:     hidden_grid_dims
    .group_segment_fixed_size: 0
    .kernarg_segment_align: 8
    .kernarg_segment_size: 288
    .language:       OpenCL C
    .language_version:
      - 2
      - 0
    .max_flat_workgroup_size: 1024
    .name:           _Z7filter2PiS_PKii
    .private_segment_fixed_size: 0
    .sgpr_count:     11
    .sgpr_spill_count: 0
    .symbol:         _Z7filter2PiS_PKii.kd
    .uniform_work_group_size: 1
    .uses_dynamic_stack: false
    .vgpr_count:     5
    .vgpr_spill_count: 0
    .wavefront_size: 32
amdhsa.target:   amdgcn-amd-amdhsa--gfx1250
amdhsa.version:
  - 1
  - 2
...

	.end_amdgpu_metadata
